;; amdgpu-corpus repo=ROCm/rocFFT kind=compiled arch=gfx1030 opt=O3
	.text
	.amdgcn_target "amdgcn-amd-amdhsa--gfx1030"
	.amdhsa_code_object_version 6
	.protected	bluestein_single_back_len637_dim1_sp_op_CI_CI ; -- Begin function bluestein_single_back_len637_dim1_sp_op_CI_CI
	.globl	bluestein_single_back_len637_dim1_sp_op_CI_CI
	.p2align	8
	.type	bluestein_single_back_len637_dim1_sp_op_CI_CI,@function
bluestein_single_back_len637_dim1_sp_op_CI_CI: ; @bluestein_single_back_len637_dim1_sp_op_CI_CI
; %bb.0:
	s_load_dwordx4 s[0:3], s[4:5], 0x28
	v_mul_u32_u24_e32 v1, 0x2d1, v0
	v_mov_b32_e32 v49, 0
	v_lshrrev_b32_e32 v1, 16, v1
	v_add_nc_u32_e32 v48, s6, v1
	s_waitcnt lgkmcnt(0)
	v_cmp_gt_u64_e32 vcc_lo, s[0:1], v[48:49]
	s_and_saveexec_b32 s0, vcc_lo
	s_cbranch_execz .LBB0_15
; %bb.1:
	s_clause 0x1
	s_load_dwordx2 s[14:15], s[4:5], 0x0
	s_load_dwordx2 s[12:13], s[4:5], 0x38
	v_mul_lo_u16 v1, 0x5b, v1
	v_sub_nc_u16 v0, v0, v1
	v_and_b32_e32 v58, 0xffff, v0
	v_cmp_gt_u16_e32 vcc_lo, 49, v0
	v_lshlrev_b32_e32 v57, 3, v58
	s_and_saveexec_b32 s1, vcc_lo
	s_cbranch_execz .LBB0_3
; %bb.2:
	s_load_dwordx2 s[6:7], s[4:5], 0x18
	s_waitcnt lgkmcnt(0)
	v_add_co_u32 v20, s0, s14, v57
	v_add_co_ci_u32_e64 v21, null, s15, 0, s0
	v_add_nc_u32_e32 v55, 0x800, v57
	v_add_co_u32 v18, s0, 0x800, v20
	v_add_co_ci_u32_e64 v19, s0, 0, v21, s0
	v_add_co_u32 v20, s0, 0x1000, v20
	v_add_co_ci_u32_e64 v21, s0, 0, v21, s0
	v_add_nc_u32_e32 v56, 0xc00, v57
	s_load_dwordx4 s[8:11], s[6:7], 0x0
	s_waitcnt lgkmcnt(0)
	v_mad_u64_u32 v[0:1], null, s10, v48, 0
	v_mad_u64_u32 v[2:3], null, s8, v58, 0
	s_mul_i32 s6, s9, 0x188
	s_mul_hi_u32 s7, s8, 0x188
	s_add_i32 s7, s7, s6
	v_mad_u64_u32 v[4:5], null, s11, v48, v[1:2]
	s_clause 0x3
	global_load_dwordx2 v[5:6], v57, s[14:15]
	global_load_dwordx2 v[7:8], v57, s[14:15] offset:392
	global_load_dwordx2 v[9:10], v57, s[14:15] offset:784
	;; [unrolled: 1-line block ×3, first 2 shown]
	v_mad_u64_u32 v[13:14], null, s9, v58, v[3:4]
	v_mov_b32_e32 v1, v4
	s_clause 0x6
	global_load_dwordx2 v[14:15], v57, s[14:15] offset:1568
	global_load_dwordx2 v[16:17], v57, s[14:15] offset:1960
	global_load_dwordx2 v[22:23], v[18:19], off offset:304
	global_load_dwordx2 v[24:25], v[18:19], off offset:696
	;; [unrolled: 1-line block ×5, first 2 shown]
	v_lshlrev_b64 v[0:1], 3, v[0:1]
	v_mov_b32_e32 v3, v13
	v_add_co_u32 v0, s0, s2, v0
	v_lshlrev_b64 v[2:3], 3, v[2:3]
	v_add_co_ci_u32_e64 v1, s0, s3, v1, s0
	s_mul_i32 s2, s8, 0x188
	v_add_co_u32 v0, s0, v0, v2
	v_add_co_ci_u32_e64 v1, s0, v1, v3, s0
	v_add_co_u32 v2, s0, v0, s2
	v_add_co_ci_u32_e64 v3, s0, s7, v1, s0
	global_load_dwordx2 v[0:1], v[0:1], off
	v_add_co_u32 v30, s0, v2, s2
	v_add_co_ci_u32_e64 v31, s0, s7, v3, s0
	v_add_co_u32 v32, s0, v30, s2
	v_add_co_ci_u32_e64 v33, s0, s7, v31, s0
	;; [unrolled: 2-line block ×3, first 2 shown]
	s_clause 0x2
	global_load_dwordx2 v[2:3], v[2:3], off
	global_load_dwordx2 v[30:31], v[30:31], off
	;; [unrolled: 1-line block ×3, first 2 shown]
	v_add_co_u32 v36, s0, v34, s2
	v_add_co_ci_u32_e64 v37, s0, s7, v35, s0
	global_load_dwordx2 v[34:35], v[34:35], off
	v_add_co_u32 v38, s0, v36, s2
	v_add_co_ci_u32_e64 v39, s0, s7, v37, s0
	global_load_dwordx2 v[36:37], v[36:37], off
	;; [unrolled: 3-line block ×8, first 2 shown]
	s_clause 0x1
	global_load_dwordx2 v[53:54], v[20:21], off offset:216
	global_load_dwordx2 v[20:21], v[20:21], off offset:608
	global_load_dwordx2 v[51:52], v[51:52], off
	s_waitcnt vmcnt(14)
	v_mul_f32_e32 v4, v1, v6
	v_mul_f32_e32 v13, v0, v6
	v_fmac_f32_e32 v4, v0, v5
	v_fma_f32 v5, v1, v5, -v13
	s_waitcnt vmcnt(13)
	v_mul_f32_e32 v6, v3, v8
	v_mul_f32_e32 v1, v2, v8
	s_waitcnt vmcnt(12)
	v_mul_f32_e32 v0, v31, v10
	v_mul_f32_e32 v8, v30, v10
	s_waitcnt vmcnt(11)
	v_mul_f32_e32 v10, v32, v12
	v_fmac_f32_e32 v6, v2, v7
	v_mul_f32_e32 v2, v33, v12
	v_fma_f32 v7, v3, v7, -v1
	v_fmac_f32_e32 v0, v30, v9
	v_fma_f32 v1, v31, v9, -v8
	v_fma_f32 v3, v33, v11, -v10
	v_fmac_f32_e32 v2, v32, v11
	ds_write2_b64 v57, v[4:5], v[6:7] offset1:49
	s_waitcnt vmcnt(10)
	v_mul_f32_e32 v8, v35, v15
	v_mul_f32_e32 v9, v34, v15
	s_waitcnt vmcnt(9)
	v_mul_f32_e32 v4, v37, v17
	ds_write2_b64 v57, v[0:1], v[2:3] offset0:98 offset1:147
	v_mul_f32_e32 v1, v36, v17
	s_waitcnt vmcnt(8)
	v_mul_f32_e32 v3, v38, v23
	v_mul_f32_e32 v0, v39, v23
	v_fmac_f32_e32 v8, v34, v14
	v_fma_f32 v9, v35, v14, -v9
	s_waitcnt vmcnt(7)
	v_mul_f32_e32 v7, v40, v25
	v_mul_f32_e32 v2, v41, v25
	v_fma_f32 v5, v37, v16, -v1
	v_fma_f32 v1, v39, v22, -v3
	v_fmac_f32_e32 v4, v36, v16
	s_waitcnt vmcnt(6)
	v_mul_f32_e32 v6, v43, v27
	v_fma_f32 v3, v41, v24, -v7
	v_mul_f32_e32 v7, v42, v27
	v_fmac_f32_e32 v0, v38, v22
	v_fmac_f32_e32 v2, v40, v24
	s_waitcnt vmcnt(5)
	v_mul_f32_e32 v10, v45, v29
	v_mul_f32_e32 v11, v44, v29
	v_fmac_f32_e32 v6, v42, v26
	v_fma_f32 v7, v43, v26, -v7
	s_waitcnt vmcnt(4)
	v_mul_f32_e32 v12, v47, v19
	v_mul_f32_e32 v13, v46, v19
	v_fmac_f32_e32 v10, v44, v28
	s_waitcnt vmcnt(2)
	v_mul_f32_e32 v14, v50, v54
	v_mul_f32_e32 v15, v49, v54
	s_waitcnt vmcnt(0)
	v_mul_f32_e32 v16, v52, v21
	v_mul_f32_e32 v17, v51, v21
	v_fma_f32 v11, v45, v28, -v11
	v_fmac_f32_e32 v12, v46, v18
	v_fma_f32 v13, v47, v18, -v13
	v_fmac_f32_e32 v14, v49, v53
	;; [unrolled: 2-line block ×3, first 2 shown]
	v_fma_f32 v17, v52, v20, -v17
	ds_write2_b64 v57, v[8:9], v[4:5] offset0:196 offset1:245
	ds_write2_b64 v55, v[0:1], v[2:3] offset0:38 offset1:87
	;; [unrolled: 1-line block ×4, first 2 shown]
	ds_write_b64 v57, v[16:17] offset:4704
.LBB0_3:
	s_or_b32 exec_lo, exec_lo, s1
	s_clause 0x1
	s_load_dwordx2 s[2:3], s[4:5], 0x20
	s_load_dwordx2 s[0:1], s[4:5], 0x8
	v_mov_b32_e32 v12, 0
	v_mov_b32_e32 v13, 0
	s_waitcnt lgkmcnt(0)
	s_barrier
	buffer_gl0_inv
                                        ; implicit-def: $vgpr26
                                        ; implicit-def: $vgpr20
                                        ; implicit-def: $vgpr16
                                        ; implicit-def: $vgpr8
                                        ; implicit-def: $vgpr30
                                        ; implicit-def: $vgpr34
	s_and_saveexec_b32 s4, vcc_lo
	s_cbranch_execz .LBB0_5
; %bb.4:
	v_add_nc_u32_e32 v0, 0x800, v57
	v_add_nc_u32_e32 v1, 0xc00, v57
	ds_read2_b64 v[12:15], v57 offset1:49
	ds_read2_b64 v[32:35], v57 offset0:98 offset1:147
	ds_read2_b64 v[28:31], v57 offset0:196 offset1:245
	;; [unrolled: 1-line block ×5, first 2 shown]
	ds_read_b64 v[8:9], v57 offset:4704
.LBB0_5:
	s_or_b32 exec_lo, exec_lo, s4
	s_waitcnt lgkmcnt(0)
	v_sub_f32_e32 v4, v15, v9
	v_sub_f32_e32 v5, v14, v8
	v_add_f32_e32 v51, v8, v14
	v_sub_f32_e32 v7, v33, v19
	v_add_f32_e32 v52, v9, v15
	v_mul_f32_e32 v36, 0xbeedf032, v4
	v_mul_f32_e32 v37, 0xbeedf032, v5
	v_add_f32_e32 v53, v18, v32
	v_sub_f32_e32 v10, v32, v18
	v_mul_f32_e32 v38, 0xbf52af12, v7
	v_fmamk_f32 v0, v51, 0x3f62ad3f, v36
	v_sub_f32_e32 v11, v35, v17
	v_fma_f32 v1, 0x3f62ad3f, v52, -v37
	v_add_f32_e32 v54, v19, v33
	v_mul_f32_e32 v39, 0xbf52af12, v10
	v_add_f32_e32 v0, v0, v12
	v_fmamk_f32 v2, v53, 0x3f116cb1, v38
	v_sub_f32_e32 v59, v34, v16
	v_add_f32_e32 v55, v16, v34
	v_mul_f32_e32 v40, 0xbf7e222b, v11
	v_sub_f32_e32 v113, v29, v23
	v_add_f32_e32 v1, v1, v13
	v_fma_f32 v3, 0x3f116cb1, v54, -v39
	v_add_f32_e32 v0, v2, v0
	v_add_f32_e32 v56, v17, v35
	v_mul_f32_e32 v41, 0xbf7e222b, v59
	v_fmamk_f32 v2, v55, 0x3df6dbef, v40
	v_sub_f32_e32 v115, v28, v22
	v_add_f32_e32 v60, v22, v28
	v_mul_f32_e32 v42, 0xbf6f5d39, v113
	v_sub_f32_e32 v117, v31, v21
	v_add_f32_e32 v1, v3, v1
	v_fma_f32 v3, 0x3df6dbef, v56, -v41
	v_add_f32_e32 v61, v23, v29
	v_mul_f32_e32 v43, 0xbf6f5d39, v115
	v_add_f32_e32 v0, v2, v0
	v_fmamk_f32 v2, v60, 0xbeb58ec6, v42
	v_sub_f32_e32 v119, v30, v20
	v_add_f32_e32 v64, v20, v30
	v_mul_f32_e32 v44, 0xbf29c268, v117
	v_sub_f32_e32 v126, v25, v27
	v_add_f32_e32 v1, v3, v1
	v_fma_f32 v3, 0xbeb58ec6, v61, -v43
	v_add_f32_e32 v69, v21, v31
	v_mul_f32_e32 v45, 0xbf29c268, v119
	v_add_f32_e32 v0, v2, v0
	v_fmamk_f32 v2, v64, 0xbf3f9e67, v44
	v_add_f32_e32 v76, v26, v24
	v_mul_f32_e32 v46, 0xbe750f2a, v126
	v_add_f32_e32 v1, v3, v1
	v_fma_f32 v3, 0xbf3f9e67, v69, -v45
	v_add_f32_e32 v0, v2, v0
	v_mul_f32_e32 v65, 0xbf52af12, v4
	v_fmamk_f32 v2, v76, 0xbf788fa5, v46
	v_mul_f32_e32 v72, 0xbf52af12, v5
	v_add_f32_e32 v1, v3, v1
	v_mul_f32_e32 v67, 0xbf6f5d39, v7
	v_mul_f32_e32 v74, 0xbf6f5d39, v10
	v_add_f32_e32 v49, v2, v0
	v_fmamk_f32 v0, v51, 0x3f116cb1, v65
	v_fma_f32 v3, 0x3f116cb1, v52, -v72
	v_sub_f32_e32 v127, v24, v26
	v_fmamk_f32 v6, v53, 0xbeb58ec6, v67
	v_mul_f32_e32 v68, 0xbe750f2a, v11
	v_add_f32_e32 v0, v0, v12
	v_add_f32_e32 v3, v3, v13
	v_fma_f32 v50, 0xbeb58ec6, v54, -v74
	v_mul_f32_e32 v71, 0xbe750f2a, v59
	v_add_f32_e32 v77, v27, v25
	v_mul_f32_e32 v47, 0xbe750f2a, v127
	v_add_f32_e32 v0, v6, v0
	v_fmamk_f32 v6, v55, 0xbf788fa5, v68
	v_mul_f32_e32 v70, 0x3f29c268, v113
	v_add_f32_e32 v3, v50, v3
	v_fma_f32 v50, 0xbf788fa5, v56, -v71
	v_mul_f32_e32 v73, 0x3f29c268, v115
	v_fma_f32 v2, 0xbf788fa5, v77, -v47
	v_add_f32_e32 v0, v6, v0
	v_fmamk_f32 v6, v60, 0xbf3f9e67, v70
	v_mul_f32_e32 v62, 0x3f7e222b, v117
	v_add_f32_e32 v3, v50, v3
	v_fma_f32 v63, 0xbf3f9e67, v61, -v73
	v_mul_f32_e32 v75, 0x3f7e222b, v119
	v_add_f32_e32 v0, v6, v0
	v_fmamk_f32 v6, v64, 0x3df6dbef, v62
	v_add_f32_e32 v50, v2, v1
	v_add_f32_e32 v1, v63, v3
	v_fma_f32 v2, 0x3df6dbef, v69, -v75
	v_mul_f32_e32 v79, 0xbf7e222b, v4
	v_mul_f32_e32 v63, 0x3eedf032, v126
	v_add_f32_e32 v0, v6, v0
	v_mul_f32_e32 v81, 0xbe750f2a, v7
	v_add_f32_e32 v1, v2, v1
	v_fmamk_f32 v2, v51, 0x3df6dbef, v79
	v_fmamk_f32 v3, v76, 0x3f62ad3f, v63
	v_mul_f32_e32 v86, 0xbf7e222b, v5
	v_fmamk_f32 v80, v53, 0xbf788fa5, v81
	v_mul_f32_e32 v83, 0x3f6f5d39, v11
	v_add_f32_e32 v78, v2, v12
	v_add_f32_e32 v2, v3, v0
	v_fma_f32 v0, 0x3df6dbef, v52, -v86
	v_mul_f32_e32 v89, 0xbe750f2a, v10
	v_mul_f32_e32 v88, 0x3f6f5d39, v59
	v_add_f32_e32 v3, v80, v78
	v_fmamk_f32 v80, v55, 0xbeb58ec6, v83
	v_mul_f32_e32 v78, 0x3eedf032, v113
	v_add_f32_e32 v0, v0, v13
	v_fma_f32 v82, 0xbf788fa5, v54, -v89
	v_mul_f32_e32 v66, 0x3eedf032, v127
	v_add_f32_e32 v3, v80, v3
	v_fmamk_f32 v84, v60, 0x3f62ad3f, v78
	v_mul_f32_e32 v80, 0xbf52af12, v117
	v_add_f32_e32 v0, v82, v0
	v_fma_f32 v85, 0xbeb58ec6, v56, -v88
	v_mul_f32_e32 v87, 0x3eedf032, v115
	v_fma_f32 v6, 0x3f62ad3f, v77, -v66
	v_add_f32_e32 v3, v84, v3
	v_fmamk_f32 v84, v64, 0x3f116cb1, v80
	v_add_f32_e32 v0, v85, v0
	v_fma_f32 v90, 0x3f62ad3f, v61, -v87
	v_mul_f32_e32 v85, 0xbf52af12, v119
	v_mul_f32_e32 v92, 0xbf6f5d39, v4
	v_add_f32_e32 v84, v84, v3
	v_add_f32_e32 v3, v6, v1
	;; [unrolled: 1-line block ×3, first 2 shown]
	v_fma_f32 v6, 0x3f116cb1, v69, -v85
	v_mul_f32_e32 v99, 0xbf6f5d39, v5
	v_mul_f32_e32 v82, 0xbf29c268, v126
	;; [unrolled: 1-line block ×4, first 2 shown]
	v_add_f32_e32 v1, v6, v1
	v_fmamk_f32 v6, v51, 0xbeb58ec6, v92
	v_fma_f32 v90, 0xbeb58ec6, v52, -v99
	v_fmamk_f32 v91, v76, 0xbf3f9e67, v82
	v_fmamk_f32 v95, v53, 0xbf3f9e67, v94
	v_mul_f32_e32 v93, 0x3eedf032, v11
	v_add_f32_e32 v6, v6, v12
	v_add_f32_e32 v90, v90, v13
	v_fma_f32 v96, 0xbf3f9e67, v54, -v100
	v_mul_f32_e32 v101, 0x3eedf032, v59
	v_add_f32_e32 v0, v91, v84
	v_mul_f32_e32 v84, 0xbf29c268, v127
	v_add_f32_e32 v6, v95, v6
	v_fmamk_f32 v98, v55, 0x3f62ad3f, v93
	v_mul_f32_e32 v95, 0xbf7e222b, v113
	v_add_f32_e32 v96, v96, v90
	v_fma_f32 v102, 0x3f62ad3f, v56, -v101
	v_mul_f32_e32 v97, 0xbf7e222b, v115
	v_fma_f32 v91, 0xbf3f9e67, v77, -v84
	v_add_f32_e32 v6, v98, v6
	v_fmamk_f32 v103, v60, 0x3df6dbef, v95
	v_mul_f32_e32 v90, 0x3e750f2a, v117
	v_add_f32_e32 v96, v102, v96
	v_fma_f32 v102, 0x3df6dbef, v61, -v97
	v_mul_f32_e32 v98, 0x3e750f2a, v119
	v_add_f32_e32 v6, v103, v6
	v_fmamk_f32 v104, v64, 0xbf788fa5, v90
	v_add_f32_e32 v1, v91, v1
	v_add_f32_e32 v102, v102, v96
	v_fma_f32 v105, 0xbf788fa5, v69, -v98
	v_mul_f32_e32 v103, 0xbf29c268, v4
	v_mul_f32_e32 v91, 0x3f52af12, v126
	v_add_f32_e32 v6, v104, v6
	v_mul_f32_e32 v104, 0x3f7e222b, v7
	v_add_f32_e32 v128, v105, v102
	v_fmamk_f32 v102, v51, 0xbf3f9e67, v103
	v_fmamk_f32 v105, v76, 0x3f116cb1, v91
	v_mul_f32_e32 v109, 0xbf29c268, v5
	v_fmamk_f32 v106, v53, 0x3df6dbef, v104
	v_mul_f32_e32 v107, 0xbf52af12, v11
	v_add_f32_e32 v102, v102, v12
	v_add_f32_e32 v6, v105, v6
	v_fma_f32 v105, 0xbf3f9e67, v52, -v109
	v_mul_f32_e32 v111, 0x3f7e222b, v10
	v_fmamk_f32 v108, v55, 0x3f116cb1, v107
	v_add_f32_e32 v102, v106, v102
	v_mul_f32_e32 v106, 0x3e750f2a, v113
	v_add_f32_e32 v112, v105, v13
	v_fma_f32 v114, 0x3df6dbef, v54, -v111
	v_mul_f32_e32 v110, 0xbf52af12, v59
	v_add_f32_e32 v102, v108, v102
	v_fmamk_f32 v116, v60, 0xbf788fa5, v106
	v_mul_f32_e32 v105, 0x3eedf032, v117
	v_add_f32_e32 v112, v114, v112
	v_fma_f32 v114, 0x3f116cb1, v56, -v110
	v_mul_f32_e32 v108, 0x3e750f2a, v115
	v_add_f32_e32 v116, v116, v102
	v_fmamk_f32 v118, v64, 0x3f62ad3f, v105
	v_mul_f32_e32 v124, 0xbe750f2a, v5
	v_add_f32_e32 v112, v114, v112
	v_mul_f32_e32 v114, 0xbe750f2a, v4
	v_fma_f32 v120, 0xbf788fa5, v61, -v108
	v_add_f32_e32 v4, v118, v116
	v_mul_f32_e32 v116, 0x3eedf032, v7
	v_fma_f32 v7, 0xbf788fa5, v52, -v124
	v_fmamk_f32 v118, v51, 0xbf788fa5, v114
	v_mul_f32_e32 v121, 0x3eedf032, v10
	v_add_f32_e32 v125, v120, v112
	v_mul_f32_e32 v112, 0x3eedf032, v119
	v_fmamk_f32 v120, v53, 0x3f62ad3f, v116
	v_add_f32_e32 v10, v118, v12
	v_add_f32_e32 v7, v7, v13
	v_fma_f32 v123, 0x3f62ad3f, v54, -v121
	v_mul_f32_e32 v118, 0xbf29c268, v11
	v_mul_f32_e32 v122, 0xbf29c268, v59
	v_fma_f32 v11, 0x3f62ad3f, v69, -v112
	v_add_f32_e32 v10, v120, v10
	v_add_f32_e32 v7, v123, v7
	v_fmamk_f32 v59, v55, 0xbf3f9e67, v118
	v_fma_f32 v130, 0xbf3f9e67, v56, -v122
	v_mul_f32_e32 v120, 0x3f52af12, v113
	v_mul_f32_e32 v123, 0x3f52af12, v115
	v_add_f32_e32 v11, v11, v125
	v_add_f32_e32 v10, v59, v10
	;; [unrolled: 1-line block ×3, first 2 shown]
	v_fmamk_f32 v59, v60, 0x3f116cb1, v120
	v_fma_f32 v115, 0x3f116cb1, v61, -v123
	v_mul_f32_e32 v117, 0xbf6f5d39, v117
	v_mul_f32_e32 v125, 0xbf6f5d39, v119
	v_mul_f32_e32 v96, 0x3f52af12, v127
	v_mul_f32_e32 v102, 0xbf6f5d39, v126
	v_mul_f32_e32 v113, 0xbf6f5d39, v127
	v_add_f32_e32 v10, v59, v10
	v_add_f32_e32 v7, v115, v7
	v_fmamk_f32 v59, v64, 0xbeb58ec6, v117
	v_fma_f32 v130, 0xbeb58ec6, v69, -v125
	v_mul_f32_e32 v115, 0x3f7e222b, v126
	v_mul_f32_e32 v119, 0x3f7e222b, v127
	v_fma_f32 v129, 0x3f116cb1, v77, -v96
	v_fmamk_f32 v5, v76, 0xbeb58ec6, v102
	v_fma_f32 v126, 0xbeb58ec6, v77, -v113
	v_add_f32_e32 v10, v59, v10
	v_add_f32_e32 v59, v130, v7
	v_fmamk_f32 v127, v76, 0x3df6dbef, v115
	v_fma_f32 v130, 0x3df6dbef, v77, -v119
	v_add_f32_e32 v7, v129, v128
	v_add_f32_e32 v4, v5, v4
	;; [unrolled: 1-line block ×5, first 2 shown]
	v_mul_lo_u16 v59, v58, 13
	s_barrier
	buffer_gl0_inv
	s_and_saveexec_b32 s4, vcc_lo
	s_cbranch_execz .LBB0_7
; %bb.6:
	v_mul_f32_e32 v126, 0xbf788fa5, v52
	v_mul_f32_e32 v127, 0x3f62ad3f, v54
	;; [unrolled: 1-line block ×5, first 2 shown]
	v_add_f32_e32 v124, v124, v126
	v_mul_f32_e32 v126, 0xbf788fa5, v51
	v_add_f32_e32 v121, v121, v127
	v_mul_f32_e32 v132, 0xbf3f9e67, v55
	v_add_f32_e32 v122, v122, v128
	v_add_f32_e32 v124, v124, v13
	v_sub_f32_e32 v114, v126, v114
	v_sub_f32_e32 v116, v131, v116
	v_mul_f32_e32 v126, 0x3f116cb1, v60
	v_add_f32_e32 v123, v123, v129
	v_add_f32_e32 v121, v121, v124
	;; [unrolled: 1-line block ×3, first 2 shown]
	v_sub_f32_e32 v118, v132, v118
	v_mul_f32_e32 v130, 0xbeb58ec6, v69
	v_sub_f32_e32 v120, v126, v120
	v_add_f32_e32 v121, v122, v121
	v_add_f32_e32 v114, v116, v114
	v_mul_f32_e32 v124, 0x3f62ad3f, v51
	v_add_f32_e32 v122, v125, v130
	v_mul_f32_e32 v125, 0xbeb58ec6, v64
	v_add_f32_e32 v121, v123, v121
	v_add_f32_e32 v114, v118, v114
	v_mul_f32_e32 v123, 0xbf3f9e67, v52
	v_mul_f32_e32 v118, 0x3f116cb1, v51
	v_sub_f32_e32 v117, v125, v117
	v_add_f32_e32 v121, v122, v121
	v_add_f32_e32 v114, v120, v114
	v_mul_f32_e32 v120, 0x3df6dbef, v54
	v_add_f32_e32 v109, v109, v123
	v_mul_f32_e32 v122, 0x3df6dbef, v77
	v_mul_f32_e32 v116, 0x3f62ad3f, v52
	;; [unrolled: 1-line block ×3, first 2 shown]
	v_add_f32_e32 v111, v111, v120
	v_add_f32_e32 v109, v109, v13
	;; [unrolled: 1-line block ×3, first 2 shown]
	v_mul_f32_e32 v122, 0x3f116cb1, v56
	v_mul_f32_e32 v120, 0x3df6dbef, v51
	v_add_f32_e32 v114, v117, v114
	v_add_f32_e32 v109, v111, v109
	v_mul_f32_e32 v111, 0x3df6dbef, v76
	v_add_f32_e32 v110, v110, v122
	v_mul_f32_e32 v122, 0xbeb58ec6, v51
	v_mul_f32_e32 v51, 0xbf3f9e67, v51
	;; [unrolled: 1-line block ×3, first 2 shown]
	v_sub_f32_e32 v111, v111, v115
	v_mul_f32_e32 v115, 0xbf788fa5, v61
	v_add_f32_e32 v109, v110, v109
	v_mul_f32_e32 v110, 0x3df6dbef, v53
	v_sub_f32_e32 v51, v51, v103
	v_mul_f32_e32 v52, 0xbeb58ec6, v52
	v_add_f32_e32 v108, v108, v115
	v_mul_f32_e32 v115, 0x3f62ad3f, v69
	v_sub_f32_e32 v104, v110, v104
	v_add_f32_e32 v51, v51, v12
	v_mul_f32_e32 v110, 0x3f116cb1, v54
	v_add_f32_e32 v108, v108, v109
	v_mul_f32_e32 v109, 0x3f116cb1, v55
	v_add_f32_e32 v52, v99, v52
	v_add_f32_e32 v51, v104, v51
	v_mul_f32_e32 v104, 0xbeb58ec6, v77
	v_add_f32_e32 v112, v112, v115
	v_sub_f32_e32 v107, v109, v107
	v_mul_f32_e32 v109, 0xbeb58ec6, v54
	v_add_f32_e32 v52, v52, v13
	v_add_f32_e32 v104, v113, v104
	v_mul_f32_e32 v113, 0xbf788fa5, v54
	v_add_f32_e32 v51, v107, v51
	v_mul_f32_e32 v107, 0xbf788fa5, v60
	v_mul_f32_e32 v54, 0xbf3f9e67, v54
	;; [unrolled: 1-line block ×4, first 2 shown]
	v_add_f32_e32 v108, v112, v108
	v_sub_f32_e32 v106, v107, v106
	v_add_f32_e32 v54, v100, v54
	v_mul_f32_e32 v107, 0x3f62ad3f, v64
	v_mul_f32_e32 v112, 0xbf788fa5, v53
	;; [unrolled: 1-line block ×3, first 2 shown]
	v_add_f32_e32 v51, v106, v51
	v_mul_f32_e32 v106, 0x3f62ad3f, v56
	v_add_f32_e32 v52, v54, v52
	v_sub_f32_e32 v105, v107, v105
	v_sub_f32_e32 v53, v53, v94
	v_add_f32_e32 v15, v15, v13
	v_add_f32_e32 v54, v101, v106
	;; [unrolled: 1-line block ×4, first 2 shown]
	v_mul_f32_e32 v105, 0x3df6dbef, v61
	v_mul_f32_e32 v99, 0x3df6dbef, v55
	v_add_f32_e32 v52, v54, v52
	v_sub_f32_e32 v54, v122, v92
	v_mul_f32_e32 v107, 0xbf788fa5, v55
	v_mul_f32_e32 v101, 0xbeb58ec6, v55
	;; [unrolled: 1-line block ×3, first 2 shown]
	v_add_f32_e32 v97, v97, v105
	v_add_f32_e32 v54, v54, v12
	v_mul_f32_e32 v105, 0xbf788fa5, v69
	v_add_f32_e32 v15, v33, v15
	v_add_f32_e32 v32, v32, v14
	v_mul_f32_e32 v106, 0xbeb58ec6, v60
	v_add_f32_e32 v53, v53, v54
	v_mul_f32_e32 v54, 0xbeb58ec6, v76
	v_mul_f32_e32 v94, 0xbf3f9e67, v60
	v_add_f32_e32 v52, v97, v52
	v_add_f32_e32 v98, v98, v105
	v_mul_f32_e32 v105, 0x3f62ad3f, v60
	v_mul_f32_e32 v60, 0x3df6dbef, v60
	v_sub_f32_e32 v55, v55, v93
	v_sub_f32_e32 v102, v54, v102
	v_add_f32_e32 v54, v86, v117
	v_add_f32_e32 v15, v35, v15
	;; [unrolled: 1-line block ×3, first 2 shown]
	v_mul_f32_e32 v100, 0x3df6dbef, v56
	v_mul_f32_e32 v125, 0xbf788fa5, v56
	;; [unrolled: 1-line block ×3, first 2 shown]
	v_add_f32_e32 v98, v98, v52
	v_add_f32_e32 v52, v55, v53
	v_sub_f32_e32 v53, v60, v95
	v_add_f32_e32 v89, v89, v113
	v_add_f32_e32 v54, v54, v13
	;; [unrolled: 1-line block ×4, first 2 shown]
	v_mul_f32_e32 v92, 0xbeb58ec6, v61
	v_mul_f32_e32 v97, 0xbf3f9e67, v61
	;; [unrolled: 1-line block ×7, first 2 shown]
	v_add_f32_e32 v113, v53, v52
	v_add_f32_e32 v53, v89, v54
	;; [unrolled: 1-line block ×5, first 2 shown]
	v_mul_f32_e32 v122, 0xbf3f9e67, v69
	v_mul_f32_e32 v55, 0x3df6dbef, v69
	v_mul_f32_e32 v69, 0x3f116cb1, v69
	v_mul_f32_e32 v86, 0x3f116cb1, v77
	v_sub_f32_e32 v64, v64, v90
	v_add_f32_e32 v90, v56, v53
	v_add_f32_e32 v61, v87, v61
	v_add_f32_e32 v53, v102, v51
	v_sub_f32_e32 v51, v120, v79
	v_add_f32_e32 v72, v72, v123
	v_sub_f32_e32 v65, v118, v65
	v_add_f32_e32 v34, v37, v116
	;; [unrolled: 2-line block ×3, first 2 shown]
	v_add_f32_e32 v24, v24, v28
	v_add_f32_e32 v86, v96, v86
	v_mul_f32_e32 v96, 0xbf788fa5, v77
	v_mul_f32_e32 v89, 0x3f62ad3f, v77
	;; [unrolled: 1-line block ×3, first 2 shown]
	v_add_f32_e32 v61, v61, v90
	v_add_f32_e32 v69, v85, v69
	;; [unrolled: 1-line block ×3, first 2 shown]
	v_sub_f32_e32 v79, v112, v81
	v_add_f32_e32 v72, v72, v13
	v_add_f32_e32 v65, v65, v12
	;; [unrolled: 1-line block ×5, first 2 shown]
	v_sub_f32_e32 v29, v103, v38
	v_add_f32_e32 v15, v27, v15
	v_add_f32_e32 v24, v26, v24
	;; [unrolled: 1-line block ×5, first 2 shown]
	v_sub_f32_e32 v77, v101, v83
	v_add_f32_e32 v74, v74, v109
	v_sub_f32_e32 v67, v115, v67
	v_add_f32_e32 v13, v32, v13
	v_add_f32_e32 v25, v41, v100
	v_add_f32_e32 v12, v29, v12
	v_sub_f32_e32 v28, v99, v40
	v_add_f32_e32 v15, v21, v15
	v_add_f32_e32 v20, v20, v24
	v_add_f32_e32 v61, v69, v61
	v_add_f32_e32 v51, v77, v51
	v_sub_f32_e32 v69, v105, v78
	v_add_f32_e32 v72, v74, v72
	v_add_f32_e32 v71, v71, v125
	v_add_f32_e32 v65, v67, v65
	v_sub_f32_e32 v67, v107, v68
	v_add_f32_e32 v13, v25, v13
	v_add_f32_e32 v25, v43, v92
	v_add_f32_e32 v12, v28, v12
	;; [unrolled: 4-line block ×3, first 2 shown]
	v_add_f32_e32 v69, v71, v72
	v_add_f32_e32 v71, v73, v97
	;; [unrolled: 1-line block ×3, first 2 shown]
	v_sub_f32_e32 v67, v94, v70
	v_mul_f32_e32 v95, 0xbf788fa5, v76
	v_add_f32_e32 v13, v25, v13
	v_add_f32_e32 v24, v45, v122
	;; [unrolled: 1-line block ×3, first 2 shown]
	v_sub_f32_e32 v21, v93, v44
	v_add_f32_e32 v15, v17, v15
	v_add_f32_e32 v16, v16, v20
	v_mul_f32_e32 v117, 0x3f62ad3f, v76
	v_mul_f32_e32 v88, 0xbf3f9e67, v76
	v_sub_f32_e32 v60, v60, v80
	v_add_f32_e32 v68, v71, v69
	v_add_f32_e32 v55, v75, v55
	;; [unrolled: 1-line block ×3, first 2 shown]
	v_sub_f32_e32 v33, v126, v62
	v_mul_f32_e32 v76, 0x3f116cb1, v76
	v_add_f32_e32 v13, v24, v13
	v_add_f32_e32 v17, v47, v96
	v_add_f32_e32 v12, v21, v12
	v_sub_f32_e32 v20, v95, v46
	v_add_f32_e32 v19, v19, v15
	v_add_f32_e32 v18, v18, v16
	v_mov_b32_e32 v21, 3
	v_add_f32_e32 v51, v60, v51
	v_sub_f32_e32 v60, v88, v82
	v_add_f32_e32 v55, v55, v68
	v_add_f32_e32 v66, v66, v89
	;; [unrolled: 1-line block ×3, first 2 shown]
	v_sub_f32_e32 v35, v117, v63
	v_add_f32_e32 v64, v64, v113
	v_sub_f32_e32 v76, v76, v91
	v_add_f32_e32 v16, v17, v13
	v_add_f32_e32 v15, v20, v12
	;; [unrolled: 1-line block ×4, first 2 shown]
	v_lshlrev_b32_sdwa v12, v21, v59 dst_sel:DWORD dst_unused:UNUSED_PAD src0_sel:DWORD src1_sel:WORD_0
	v_add_f32_e32 v60, v60, v51
	v_add_f32_e32 v14, v66, v55
	;; [unrolled: 1-line block ×8, first 2 shown]
	ds_write2_b64 v12, v[8:9], v[15:16] offset1:1
	ds_write2_b64 v12, v[13:14], v[60:61] offset0:2 offset1:3
	ds_write2_b64 v12, v[55:56], v[53:54] offset0:4 offset1:5
	;; [unrolled: 1-line block ×5, first 2 shown]
	ds_write_b64 v12, v[49:50] offset:96
.LBB0_7:
	s_or_b32 exec_lo, exec_lo, s4
	v_and_b32_e32 v8, 0xff, v58
	s_load_dwordx4 s[4:7], s[2:3], 0x0
	s_waitcnt lgkmcnt(0)
	s_barrier
	buffer_gl0_inv
	v_mul_lo_u16 v8, 0x4f, v8
	v_add_nc_u32_e32 v52, 0x400, v57
	v_add_nc_u32_e32 v51, 0x800, v57
	v_mov_b32_e32 v37, 0x5b
	v_lshrrev_b16 v36, 10, v8
	v_mul_lo_u16 v8, v36, 13
	v_mul_u32_u24_sdwa v39, v36, v37 dst_sel:DWORD dst_unused:UNUSED_PAD src0_sel:WORD_0 src1_sel:DWORD
	v_mad_u64_u32 v[36:37], null, v58, 48, s[0:1]
	v_sub_nc_u16 v8, v58, v8
	v_and_b32_e32 v38, 0xff, v8
	v_mul_u32_u24_e32 v8, 6, v38
	v_add_lshl_u32 v60, v39, v38, 3
	v_lshlrev_b32_e32 v8, 3, v8
	s_clause 0x2
	global_load_dwordx4 v[20:23], v8, s[0:1]
	global_load_dwordx4 v[16:19], v8, s[0:1] offset:16
	global_load_dwordx4 v[12:15], v8, s[0:1] offset:32
	ds_read2_b64 v[24:27], v57 offset1:91
	ds_read2_b64 v[28:31], v52 offset0:54 offset1:145
	ds_read2_b64 v[32:35], v51 offset0:108 offset1:199
	ds_read_b64 v[8:9], v57 offset:4368
	s_waitcnt vmcnt(0) lgkmcnt(0)
	s_barrier
	buffer_gl0_inv
	v_mul_f32_e32 v38, v27, v21
	v_mul_f32_e32 v39, v26, v21
	;; [unrolled: 1-line block ×12, first 2 shown]
	v_fma_f32 v26, v26, v20, -v38
	v_fmac_f32_e32 v39, v27, v20
	v_fma_f32 v27, v28, v22, -v40
	v_fmac_f32_e32 v41, v29, v22
	;; [unrolled: 2-line block ×6, first 2 shown]
	v_add_f32_e32 v30, v26, v8
	v_add_f32_e32 v31, v39, v54
	;; [unrolled: 1-line block ×4, first 2 shown]
	v_sub_f32_e32 v8, v26, v8
	v_sub_f32_e32 v26, v39, v54
	;; [unrolled: 1-line block ×4, first 2 shown]
	v_add_f32_e32 v34, v28, v29
	v_add_f32_e32 v35, v43, v45
	v_sub_f32_e32 v28, v29, v28
	v_sub_f32_e32 v29, v45, v43
	v_add_f32_e32 v38, v32, v30
	v_add_f32_e32 v39, v33, v31
	v_sub_f32_e32 v40, v32, v30
	v_sub_f32_e32 v41, v33, v31
	;; [unrolled: 1-line block ×6, first 2 shown]
	v_add_f32_e32 v42, v28, v9
	v_add_f32_e32 v43, v29, v27
	v_sub_f32_e32 v44, v28, v9
	v_sub_f32_e32 v45, v29, v27
	;; [unrolled: 1-line block ×3, first 2 shown]
	v_add_f32_e32 v34, v34, v38
	v_add_f32_e32 v35, v35, v39
	v_sub_f32_e32 v27, v27, v26
	v_sub_f32_e32 v28, v8, v28
	;; [unrolled: 1-line block ×3, first 2 shown]
	v_add_f32_e32 v38, v42, v8
	v_add_f32_e32 v26, v43, v26
	v_mul_f32_e32 v30, 0x3f4a47b2, v30
	v_mul_f32_e32 v31, 0x3f4a47b2, v31
	;; [unrolled: 1-line block ×7, first 2 shown]
	v_add_f32_e32 v8, v24, v34
	v_add_f32_e32 v9, v25, v35
	v_mul_f32_e32 v47, 0x3f5ff5aa, v27
	v_fmamk_f32 v24, v32, 0x3d64c772, v30
	v_fmamk_f32 v25, v33, 0x3d64c772, v31
	v_fma_f32 v32, 0x3f3bfb3b, v40, -v39
	v_fma_f32 v33, 0x3f3bfb3b, v41, -v42
	v_fma_f32 v30, 0xbf3bfb3b, v40, -v30
	v_fma_f32 v31, 0xbf3bfb3b, v41, -v31
	v_fmamk_f32 v39, v28, 0x3eae86e6, v43
	v_fmamk_f32 v40, v29, 0x3eae86e6, v44
	v_fma_f32 v41, 0x3f5ff5aa, v46, -v43
	v_fma_f32 v42, 0x3f5ff5aa, v27, -v44
	;; [unrolled: 1-line block ×3, first 2 shown]
	v_fmamk_f32 v27, v34, 0xbf955555, v8
	v_fmamk_f32 v28, v35, 0xbf955555, v9
	v_fma_f32 v44, 0xbeae86e6, v29, -v47
	v_fmac_f32_e32 v39, 0x3ee1c552, v38
	v_fmac_f32_e32 v40, 0x3ee1c552, v26
	v_add_f32_e32 v34, v24, v27
	v_add_f32_e32 v35, v25, v28
	v_fmac_f32_e32 v41, 0x3ee1c552, v38
	v_fmac_f32_e32 v42, 0x3ee1c552, v26
	;; [unrolled: 1-line block ×4, first 2 shown]
	v_add_f32_e32 v32, v32, v27
	v_add_f32_e32 v38, v30, v27
	;; [unrolled: 1-line block ×5, first 2 shown]
	v_sub_f32_e32 v25, v35, v39
	v_add_f32_e32 v26, v44, v38
	v_sub_f32_e32 v27, v45, v43
	v_sub_f32_e32 v28, v32, v42
	v_add_f32_e32 v29, v41, v31
	v_add_f32_e32 v30, v42, v32
	v_sub_f32_e32 v31, v31, v41
	v_sub_f32_e32 v32, v38, v44
	v_add_f32_e32 v33, v43, v45
	v_sub_f32_e32 v34, v34, v40
	v_add_f32_e32 v35, v39, v35
	ds_write2_b64 v60, v[8:9], v[24:25] offset1:13
	ds_write2_b64 v60, v[26:27], v[28:29] offset0:26 offset1:39
	ds_write2_b64 v60, v[30:31], v[32:33] offset0:52 offset1:65
	ds_write_b64 v60, v[34:35] offset:624
	s_waitcnt lgkmcnt(0)
	s_barrier
	buffer_gl0_inv
	s_clause 0x2
	global_load_dwordx4 v[32:35], v[36:37], off offset:624
	global_load_dwordx4 v[28:31], v[36:37], off offset:640
	;; [unrolled: 1-line block ×3, first 2 shown]
	ds_read2_b64 v[36:39], v57 offset1:91
	ds_read2_b64 v[40:43], v52 offset0:54 offset1:145
	ds_read2_b64 v[44:47], v51 offset0:108 offset1:199
	ds_read_b64 v[8:9], v57 offset:4368
	s_waitcnt vmcnt(2) lgkmcnt(3)
	v_mul_f32_e32 v53, v39, v33
	v_mul_f32_e32 v54, v38, v33
	s_waitcnt lgkmcnt(2)
	v_mul_f32_e32 v55, v41, v35
	v_mul_f32_e32 v56, v40, v35
	s_waitcnt vmcnt(0) lgkmcnt(1)
	v_mul_f32_e32 v65, v47, v25
	v_mul_f32_e32 v66, v46, v25
	s_waitcnt lgkmcnt(0)
	v_mul_f32_e32 v67, v9, v27
	v_mul_f32_e32 v68, v8, v27
	;; [unrolled: 1-line block ×6, first 2 shown]
	v_fma_f32 v38, v38, v32, -v53
	v_fmac_f32_e32 v54, v39, v32
	v_fma_f32 v39, v40, v34, -v55
	v_fmac_f32_e32 v56, v41, v34
	;; [unrolled: 2-line block ×6, first 2 shown]
	v_add_f32_e32 v42, v38, v8
	v_add_f32_e32 v43, v54, v68
	v_add_f32_e32 v44, v39, v9
	v_add_f32_e32 v45, v56, v66
	v_sub_f32_e32 v8, v38, v8
	v_sub_f32_e32 v38, v54, v68
	;; [unrolled: 1-line block ×4, first 2 shown]
	v_add_f32_e32 v46, v40, v41
	v_add_f32_e32 v47, v62, v64
	v_sub_f32_e32 v40, v41, v40
	v_sub_f32_e32 v41, v64, v62
	v_add_f32_e32 v53, v44, v42
	v_add_f32_e32 v54, v45, v43
	v_sub_f32_e32 v55, v44, v42
	v_sub_f32_e32 v56, v45, v43
	;; [unrolled: 1-line block ×6, first 2 shown]
	v_add_f32_e32 v61, v40, v9
	v_add_f32_e32 v62, v41, v39
	v_sub_f32_e32 v63, v40, v9
	v_sub_f32_e32 v64, v41, v39
	;; [unrolled: 1-line block ×4, first 2 shown]
	v_add_f32_e32 v46, v46, v53
	v_add_f32_e32 v47, v47, v54
	v_sub_f32_e32 v40, v8, v40
	v_sub_f32_e32 v41, v38, v41
	v_add_f32_e32 v8, v61, v8
	v_add_f32_e32 v38, v62, v38
	v_mul_f32_e32 v42, 0x3f4a47b2, v42
	v_mul_f32_e32 v43, 0x3f4a47b2, v43
	v_mul_f32_e32 v53, 0x3d64c772, v44
	v_mul_f32_e32 v54, 0x3d64c772, v45
	v_mul_f32_e32 v61, 0xbf08b237, v63
	v_mul_f32_e32 v62, 0xbf08b237, v64
	v_mul_f32_e32 v63, 0x3f5ff5aa, v9
	v_mul_f32_e32 v64, 0x3f5ff5aa, v39
	v_add_f32_e32 v36, v36, v46
	v_add_f32_e32 v37, v37, v47
	v_fmamk_f32 v44, v44, 0x3d64c772, v42
	v_fmamk_f32 v45, v45, 0x3d64c772, v43
	v_fma_f32 v53, 0x3f3bfb3b, v55, -v53
	v_fma_f32 v54, 0x3f3bfb3b, v56, -v54
	;; [unrolled: 1-line block ×4, first 2 shown]
	v_fmamk_f32 v55, v40, 0x3eae86e6, v61
	v_fmamk_f32 v56, v41, 0x3eae86e6, v62
	v_fma_f32 v9, 0x3f5ff5aa, v9, -v61
	v_fma_f32 v61, 0x3f5ff5aa, v39, -v62
	;; [unrolled: 1-line block ×4, first 2 shown]
	v_fmamk_f32 v39, v46, 0xbf955555, v36
	v_fmamk_f32 v40, v47, 0xbf955555, v37
	v_fmac_f32_e32 v55, 0x3ee1c552, v8
	v_fmac_f32_e32 v56, 0x3ee1c552, v38
	;; [unrolled: 1-line block ×6, first 2 shown]
	v_add_f32_e32 v8, v44, v39
	v_add_f32_e32 v64, v45, v40
	;; [unrolled: 1-line block ×7, first 2 shown]
	v_sub_f32_e32 v39, v64, v55
	v_add_f32_e32 v44, v63, v42
	v_sub_f32_e32 v45, v43, v62
	v_sub_f32_e32 v46, v41, v61
	v_add_f32_e32 v47, v9, v53
	v_add_f32_e32 v40, v61, v41
	v_sub_f32_e32 v41, v53, v9
	v_sub_f32_e32 v42, v42, v63
	v_add_f32_e32 v43, v62, v43
	v_sub_f32_e32 v8, v8, v56
	v_add_f32_e32 v9, v55, v64
	ds_write2_b64 v57, v[36:37], v[38:39] offset1:91
	ds_write2_b64 v52, v[44:45], v[46:47] offset0:54 offset1:145
	ds_write2_b64 v51, v[40:41], v[42:43] offset0:108 offset1:199
	ds_write_b64 v57, v[8:9] offset:4368
	s_waitcnt lgkmcnt(0)
	s_barrier
	buffer_gl0_inv
	s_and_saveexec_b32 s1, vcc_lo
	s_cbranch_execz .LBB0_9
; %bb.8:
	v_add_co_u32 v56, s0, s14, v57
	v_add_co_ci_u32_e64 v65, null, s15, 0, s0
	v_add_nc_u32_e32 v103, 0xc00, v57
	v_add_co_u32 v52, s0, 0x1000, v56
	v_add_co_ci_u32_e64 v53, s0, 0, v65, s0
	v_add_co_u32 v54, s0, 0x13e8, v56
	v_add_co_ci_u32_e64 v55, s0, 0, v65, s0
	s_clause 0x1
	global_load_dwordx2 v[61:62], v[52:53], off offset:1000
	global_load_dwordx2 v[63:64], v[54:55], off offset:392
	v_add_co_u32 v52, s0, 0x1800, v56
	v_add_co_ci_u32_e64 v53, s0, 0, v65, s0
	s_clause 0x5
	global_load_dwordx2 v[77:78], v[54:55], off offset:784
	global_load_dwordx2 v[79:80], v[54:55], off offset:1176
	;; [unrolled: 1-line block ×6, first 2 shown]
	v_add_co_u32 v52, s0, 0x2000, v56
	v_add_co_ci_u32_e64 v53, s0, 0, v65, s0
	s_clause 0x4
	global_load_dwordx2 v[89:90], v[52:53], off offset:40
	global_load_dwordx2 v[91:92], v[52:53], off offset:432
	;; [unrolled: 1-line block ×5, first 2 shown]
	ds_read2_b64 v[52:55], v57 offset1:49
	s_waitcnt vmcnt(12) lgkmcnt(0)
	v_mul_f32_e32 v56, v53, v62
	v_mul_f32_e32 v65, v52, v62
	s_waitcnt vmcnt(11)
	v_mul_f32_e32 v66, v55, v64
	v_mul_f32_e32 v62, v54, v64
	v_fma_f32 v64, v52, v61, -v56
	v_fmac_f32_e32 v65, v53, v61
	v_fma_f32 v61, v54, v63, -v66
	v_fmac_f32_e32 v62, v55, v63
	ds_write2_b64 v57, v[64:65], v[61:62] offset1:49
	ds_read2_b64 v[52:55], v57 offset0:98 offset1:147
	ds_read2_b64 v[61:64], v57 offset0:196 offset1:245
	;; [unrolled: 1-line block ×5, first 2 shown]
	ds_read_b64 v[99:100], v57 offset:4704
	s_waitcnt vmcnt(10) lgkmcnt(5)
	v_mul_f32_e32 v101, v53, v78
	v_mul_f32_e32 v102, v52, v78
	s_waitcnt vmcnt(9)
	v_mul_f32_e32 v104, v55, v80
	v_mul_f32_e32 v78, v54, v80
	s_waitcnt vmcnt(8) lgkmcnt(4)
	v_mul_f32_e32 v105, v62, v82
	v_mul_f32_e32 v56, v61, v82
	s_waitcnt vmcnt(5)
	v_mul_f32_e32 v106, v64, v88
	v_mul_f32_e32 v80, v63, v88
	s_waitcnt lgkmcnt(3)
	v_mul_f32_e32 v107, v66, v84
	v_mul_f32_e32 v82, v65, v84
	;; [unrolled: 1-line block ×4, first 2 shown]
	s_waitcnt vmcnt(4) lgkmcnt(2)
	v_mul_f32_e32 v109, v70, v90
	v_mul_f32_e32 v86, v69, v90
	s_waitcnt vmcnt(3)
	v_mul_f32_e32 v110, v72, v92
	v_mul_f32_e32 v88, v71, v92
	s_waitcnt vmcnt(2) lgkmcnt(1)
	v_mul_f32_e32 v111, v74, v94
	v_mul_f32_e32 v90, v73, v94
	s_waitcnt vmcnt(1)
	v_mul_f32_e32 v112, v76, v96
	v_mul_f32_e32 v92, v75, v96
	s_waitcnt vmcnt(0) lgkmcnt(0)
	v_mul_f32_e32 v96, v100, v98
	v_mul_f32_e32 v94, v99, v98
	v_fma_f32 v101, v52, v77, -v101
	v_fmac_f32_e32 v102, v53, v77
	v_fma_f32 v77, v54, v79, -v104
	v_fmac_f32_e32 v78, v55, v79
	;; [unrolled: 2-line block ×11, first 2 shown]
	ds_write2_b64 v57, v[101:102], v[77:78] offset0:98 offset1:147
	ds_write2_b64 v57, v[55:56], v[79:80] offset0:196 offset1:245
	;; [unrolled: 1-line block ×5, first 2 shown]
	ds_write_b64 v57, v[93:94] offset:4704
.LBB0_9:
	s_or_b32 exec_lo, exec_lo, s1
	s_waitcnt lgkmcnt(0)
	s_barrier
	buffer_gl0_inv
	s_and_saveexec_b32 s0, vcc_lo
	s_cbranch_execz .LBB0_11
; %bb.10:
	v_add_nc_u32_e32 v0, 0x800, v57
	v_add_nc_u32_e32 v1, 0xc00, v57
	ds_read2_b64 v[36:39], v57 offset1:49
	ds_read2_b64 v[44:47], v57 offset0:98 offset1:147
	ds_read2_b64 v[40:43], v57 offset0:196 offset1:245
	;; [unrolled: 1-line block ×5, first 2 shown]
	ds_read_b64 v[49:50], v57 offset:4704
.LBB0_11:
	s_or_b32 exec_lo, exec_lo, s0
	s_waitcnt lgkmcnt(0)
	s_barrier
	buffer_gl0_inv
	s_and_saveexec_b32 s0, vcc_lo
	s_cbranch_execz .LBB0_13
; %bb.12:
	v_add_f32_e32 v75, v50, v39
	v_sub_f32_e32 v65, v38, v49
	v_add_f32_e32 v77, v3, v45
	v_sub_f32_e32 v62, v44, v2
	v_add_f32_e32 v78, v1, v47
	v_mul_f32_e32 v79, 0xbf788fa5, v75
	v_sub_f32_e32 v63, v46, v0
	v_mul_f32_e32 v81, 0x3f62ad3f, v77
	v_add_f32_e32 v80, v7, v41
	v_mul_f32_e32 v83, 0xbf3f9e67, v78
	v_fmamk_f32 v51, v65, 0x3e750f2a, v79
	v_sub_f32_e32 v84, v39, v50
	v_fmamk_f32 v52, v62, 0xbeedf032, v81
	v_sub_f32_e32 v61, v40, v6
	v_add_f32_e32 v82, v5, v43
	v_add_f32_e32 v51, v37, v51
	;; [unrolled: 1-line block ×3, first 2 shown]
	v_mul_f32_e32 v85, 0x3f116cb1, v80
	v_fmamk_f32 v53, v63, 0x3f29c268, v83
	v_sub_f32_e32 v86, v45, v3
	v_add_f32_e32 v51, v52, v51
	v_mul_f32_e32 v88, 0xbe750f2a, v84
	v_sub_f32_e32 v64, v42, v4
	v_mul_f32_e32 v87, 0xbeb58ec6, v82
	v_fmamk_f32 v52, v61, 0xbf52af12, v85
	v_add_f32_e32 v51, v53, v51
	v_add_f32_e32 v68, v2, v44
	v_mul_f32_e32 v89, 0x3eedf032, v86
	v_fmamk_f32 v54, v66, 0xbf788fa5, v88
	v_sub_f32_e32 v91, v47, v1
	v_fmamk_f32 v53, v64, 0x3f6f5d39, v87
	v_add_f32_e32 v51, v52, v51
	v_add_f32_e32 v90, v11, v9
	v_fmamk_f32 v52, v68, 0x3f62ad3f, v89
	v_add_f32_e32 v54, v36, v54
	v_add_f32_e32 v69, v0, v46
	v_mul_f32_e32 v92, 0xbf29c268, v91
	v_sub_f32_e32 v94, v41, v7
	v_add_f32_e32 v51, v53, v51
	v_mul_f32_e32 v93, 0x3df6dbef, v90
	v_sub_f32_e32 v67, v8, v10
	v_add_f32_e32 v52, v52, v54
	v_fmamk_f32 v53, v69, 0xbf3f9e67, v92
	v_add_f32_e32 v70, v6, v40
	v_mul_f32_e32 v95, 0x3f52af12, v94
	v_fmamk_f32 v54, v67, 0xbf7e222b, v93
	v_sub_f32_e32 v96, v43, v5
	v_add_f32_e32 v53, v53, v52
	v_mul_f32_e32 v97, 0xbf3f9e67, v75
	v_fmamk_f32 v55, v70, 0x3f116cb1, v95
	v_add_f32_e32 v52, v54, v51
	v_add_f32_e32 v72, v4, v42
	v_mul_f32_e32 v98, 0xbf6f5d39, v96
	v_sub_f32_e32 v99, v9, v11
	v_add_f32_e32 v51, v55, v53
	v_fmamk_f32 v53, v65, 0x3f29c268, v97
	v_mul_f32_e32 v100, 0x3df6dbef, v77
	v_fmamk_f32 v54, v72, 0xbeb58ec6, v98
	v_add_f32_e32 v71, v10, v8
	v_mul_f32_e32 v101, 0x3f7e222b, v99
	v_add_f32_e32 v53, v37, v53
	v_fmamk_f32 v55, v62, 0xbf7e222b, v100
	v_mul_f32_e32 v102, 0x3f116cb1, v78
	v_add_f32_e32 v51, v54, v51
	v_fmamk_f32 v54, v71, 0x3df6dbef, v101
	;; [unrolled: 3-line block ×35, first 2 shown]
	v_mul_f32_e32 v138, 0xbf788fa5, v78
	v_mul_f32_e32 v142, 0xbf52af12, v84
	v_add_f32_e32 v74, v131, v74
	v_fmamk_f32 v131, v72, 0x3f116cb1, v136
	v_add_f32_e32 v76, v137, v76
	v_fmamk_f32 v137, v63, 0x3e750f2a, v138
	v_mul_f32_e32 v140, 0xbf3f9e67, v80
	v_fmamk_f32 v144, v66, 0x3f116cb1, v142
	v_mul_f32_e32 v145, 0xbf6f5d39, v86
	v_mul_f32_e32 v139, 0xbf3f9e67, v90
	v_add_f32_e32 v131, v131, v74
	v_add_f32_e32 v74, v137, v76
	v_fmamk_f32 v76, v61, 0xbf29c268, v140
	v_mul_f32_e32 v137, 0x3df6dbef, v82
	v_mul_f32_e32 v143, 0xbf29c268, v99
	v_add_f32_e32 v144, v36, v144
	v_fmamk_f32 v147, v68, 0xbeb58ec6, v145
	v_mul_f32_e32 v148, 0xbe750f2a, v91
	v_fmamk_f32 v141, v67, 0x3f29c268, v139
	v_add_f32_e32 v74, v76, v74
	v_fmamk_f32 v76, v64, 0xbf7e222b, v137
	v_fmamk_f32 v149, v71, 0xbf3f9e67, v143
	v_add_f32_e32 v144, v147, v144
	v_fmamk_f32 v147, v69, 0xbf788fa5, v148
	v_add_f32_e32 v39, v39, v37
	v_add_f32_e32 v38, v38, v36
	;; [unrolled: 1-line block ×5, first 2 shown]
	v_mul_f32_e32 v131, 0x3f62ad3f, v75
	v_add_f32_e32 v75, v147, v144
	v_mul_f32_e32 v144, 0x3f29c268, v94
	v_add_f32_e32 v39, v45, v39
	v_add_f32_e32 v38, v44, v38
	v_fmamk_f32 v141, v65, 0x3eedf032, v131
	v_mul_f32_e32 v84, 0xbeedf032, v84
	v_fmac_f32_e32 v79, 0xbe750f2a, v65
	v_add_f32_e32 v39, v47, v39
	v_add_f32_e32 v38, v46, v38
	v_fmamk_f32 v46, v70, 0xbf3f9e67, v144
	v_mul_f32_e32 v47, 0x3f7e222b, v96
	v_add_f32_e32 v44, v37, v141
	v_mul_f32_e32 v141, 0x3eedf032, v99
	v_add_f32_e32 v39, v41, v39
	v_add_f32_e32 v46, v46, v75
	v_fmamk_f32 v75, v72, 0x3df6dbef, v47
	v_add_f32_e32 v38, v40, v38
	v_fmamk_f32 v41, v66, 0x3f62ad3f, v84
	v_add_f32_e32 v39, v43, v39
	v_mul_f32_e32 v43, 0xbf7e222b, v91
	v_add_f32_e32 v46, v75, v46
	v_fmamk_f32 v75, v71, 0x3f62ad3f, v141
	v_add_f32_e32 v38, v42, v38
	v_add_f32_e32 v9, v9, v39
	;; [unrolled: 1-line block ×3, first 2 shown]
	v_fmac_f32_e32 v81, 0x3eedf032, v62
	v_add_f32_e32 v75, v75, v46
	v_mul_f32_e32 v46, 0xbf52af12, v86
	v_add_f32_e32 v9, v11, v9
	v_add_f32_e32 v8, v8, v38
	v_mul_f32_e32 v38, 0xbf6f5d39, v94
	v_fmac_f32_e32 v83, 0xbf29c268, v63
	v_fmamk_f32 v41, v68, 0x3f116cb1, v46
	v_add_f32_e32 v9, v5, v9
	v_add_f32_e32 v8, v10, v8
	v_fmamk_f32 v10, v70, 0xbeb58ec6, v38
	v_fmac_f32_e32 v97, 0xbf29c268, v65
	v_add_f32_e32 v40, v41, v40
	v_fmamk_f32 v41, v69, 0x3df6dbef, v43
	v_add_f32_e32 v7, v7, v9
	v_add_f32_e32 v4, v4, v8
	v_fmac_f32_e32 v85, 0x3f52af12, v61
	v_mul_f32_e32 v77, 0x3f116cb1, v77
	v_add_f32_e32 v40, v41, v40
	v_mul_f32_e32 v41, 0xbf29c268, v96
	v_add_f32_e32 v1, v1, v7
	v_add_f32_e32 v4, v6, v4
	v_fmac_f32_e32 v100, 0x3f7e222b, v62
	v_add_f32_e32 v8, v10, v40
	v_fmamk_f32 v9, v72, 0xbf3f9e67, v41
	v_mul_f32_e32 v40, 0xbe750f2a, v99
	v_add_f32_e32 v1, v3, v1
	v_add_f32_e32 v0, v0, v4
	;; [unrolled: 1-line block ×4, first 2 shown]
	v_fmamk_f32 v7, v71, 0xbf788fa5, v40
	v_fmac_f32_e32 v87, 0xbf6f5d39, v64
	v_add_f32_e32 v0, v2, v0
	v_add_f32_e32 v2, v81, v3
	v_fmamk_f32 v45, v62, 0x3f52af12, v77
	v_add_f32_e32 v4, v7, v6
	v_fma_f32 v6, 0xbf788fa5, v66, -v88
	v_add_f32_e32 v7, v37, v97
	v_add_f32_e32 v2, v83, v2
	v_mul_f32_e32 v78, 0x3df6dbef, v78
	v_fmac_f32_e32 v102, 0xbf52af12, v63
	v_add_f32_e32 v3, v36, v6
	v_fma_f32 v6, 0x3f62ad3f, v68, -v89
	v_add_f32_e32 v2, v85, v2
	v_add_f32_e32 v7, v100, v7
	v_fmac_f32_e32 v93, 0x3f7e222b, v67
	v_add_f32_e32 v44, v45, v44
	v_add_f32_e32 v3, v6, v3
	v_fma_f32 v6, 0xbf3f9e67, v69, -v92
	v_add_f32_e32 v2, v87, v2
	v_fmamk_f32 v45, v63, 0x3f7e222b, v78
	v_mul_f32_e32 v80, 0xbeb58ec6, v80
	v_fma_f32 v8, 0xbeb58ec6, v72, -v98
	v_add_f32_e32 v3, v6, v3
	v_fma_f32 v6, 0x3f116cb1, v70, -v95
	v_add_f32_e32 v7, v102, v7
	v_fmac_f32_e32 v104, 0x3e750f2a, v61
	v_add_f32_e32 v44, v45, v44
	v_fmamk_f32 v45, v61, 0x3f6f5d39, v80
	v_add_f32_e32 v6, v6, v3
	v_add_f32_e32 v3, v93, v2
	v_fma_f32 v2, 0xbf3f9e67, v66, -v103
	v_mul_f32_e32 v82, 0xbf3f9e67, v82
	v_add_f32_e32 v7, v104, v7
	v_add_f32_e32 v6, v8, v6
	v_fma_f32 v8, 0x3df6dbef, v71, -v101
	v_fmac_f32_e32 v106, 0x3eedf032, v64
	v_add_f32_e32 v9, v36, v2
	v_fma_f32 v10, 0x3df6dbef, v68, -v105
	v_fmac_f32_e32 v110, 0xbf6f5d39, v65
	v_add_f32_e32 v44, v45, v44
	v_fmamk_f32 v45, v64, 0x3f29c268, v82
	v_mul_f32_e32 v39, 0xbf788fa5, v90
	v_add_f32_e32 v2, v8, v6
	v_add_f32_e32 v6, v106, v7
	v_fmac_f32_e32 v108, 0xbf6f5d39, v67
	v_add_f32_e32 v8, v10, v9
	v_fma_f32 v9, 0x3f116cb1, v69, -v107
	v_add_f32_e32 v10, v37, v110
	v_fmac_f32_e32 v112, 0x3f29c268, v62
	v_add_f32_e32 v44, v45, v44
	v_fmamk_f32 v11, v67, 0x3e750f2a, v39
	v_add_f32_e32 v7, v108, v6
	v_fma_f32 v6, 0xbeb58ec6, v66, -v115
	v_add_f32_e32 v8, v9, v8
	v_fma_f32 v9, 0xbf788fa5, v70, -v109
	v_add_f32_e32 v10, v112, v10
	v_fmac_f32_e32 v114, 0x3eedf032, v63
	v_add_f32_e32 v5, v11, v44
	v_add_f32_e32 v6, v36, v6
	v_fma_f32 v11, 0xbf3f9e67, v68, -v117
	v_add_f32_e32 v8, v9, v8
	v_fma_f32 v9, 0x3f62ad3f, v72, -v111
	v_add_f32_e32 v10, v114, v10
	v_fmac_f32_e32 v116, 0xbf7e222b, v61
	v_add_f32_e32 v6, v11, v6
	v_fma_f32 v11, 0x3f62ad3f, v69, -v119
	v_add_f32_e32 v8, v9, v8
	v_fma_f32 v9, 0xbeb58ec6, v71, -v113
	v_add_f32_e32 v10, v116, v10
	v_fmac_f32_e32 v118, 0x3e750f2a, v64
	v_add_f32_e32 v11, v11, v6
	v_fma_f32 v42, 0x3df6dbef, v70, -v121
	v_add_f32_e32 v6, v9, v8
	v_fmac_f32_e32 v122, 0xbf7e222b, v65
	v_add_f32_e32 v8, v118, v10
	v_fmac_f32_e32 v120, 0x3f52af12, v67
	v_add_f32_e32 v10, v42, v11
	v_fma_f32 v11, 0xbf788fa5, v72, -v123
	v_add_f32_e32 v42, v37, v122
	v_fmac_f32_e32 v124, 0xbe750f2a, v62
	v_add_f32_e32 v9, v120, v8
	v_fma_f32 v8, 0x3df6dbef, v66, -v127
	v_add_f32_e32 v10, v11, v10
	v_fma_f32 v11, 0x3f116cb1, v71, -v125
	v_add_f32_e32 v42, v124, v42
	v_fmac_f32_e32 v126, 0x3f6f5d39, v63
	v_add_f32_e32 v44, v36, v8
	v_fma_f32 v45, 0xbf788fa5, v68, -v129
	v_fmac_f32_e32 v133, 0xbf52af12, v65
	v_add_f32_e32 v8, v11, v10
	v_add_f32_e32 v10, v126, v42
	v_fmac_f32_e32 v128, 0x3eedf032, v61
	v_add_f32_e32 v11, v45, v44
	v_fma_f32 v42, 0xbeb58ec6, v69, -v132
	v_add_f32_e32 v44, v37, v133
	v_fmac_f32_e32 v135, 0xbf6f5d39, v62
	v_add_f32_e32 v10, v128, v10
	v_fmac_f32_e32 v130, 0xbf52af12, v64
	v_add_f32_e32 v11, v42, v11
	v_fma_f32 v42, 0x3f62ad3f, v70, -v134
	v_add_f32_e32 v44, v135, v44
	v_fmac_f32_e32 v138, 0xbe750f2a, v63
	;; [unrolled: 6-line block ×3, first 2 shown]
	v_add_f32_e32 v11, v139, v10
	v_fma_f32 v10, 0x3f116cb1, v66, -v142
	v_add_f32_e32 v42, v45, v42
	v_fma_f32 v45, 0xbf3f9e67, v71, -v143
	v_add_f32_e32 v44, v140, v44
	v_fmac_f32_e32 v137, 0x3f7e222b, v64
	v_add_f32_e32 v1, v50, v1
	v_add_f32_e32 v0, v49, v0
	;; [unrolled: 1-line block ×3, first 2 shown]
	v_fma_f32 v50, 0xbeb58ec6, v68, -v145
	v_add_f32_e32 v10, v45, v42
	v_fmac_f32_e32 v131, 0xbeedf032, v65
	v_add_f32_e32 v42, v137, v44
	v_fma_f32 v44, 0x3f62ad3f, v66, -v84
	v_add_f32_e32 v45, v50, v49
	v_fma_f32 v49, 0xbf788fa5, v69, -v148
	v_add_f32_e32 v37, v37, v131
	v_fmac_f32_e32 v77, 0xbf52af12, v62
	v_add_f32_e32 v36, v36, v44
	v_fma_f32 v44, 0x3f116cb1, v68, -v46
	v_add_f32_e32 v45, v49, v45
	;; [unrolled: 6-line block ×3, first 2 shown]
	v_fma_f32 v45, 0x3df6dbef, v72, -v47
	v_add_f32_e32 v37, v78, v37
	v_fmac_f32_e32 v80, 0xbf6f5d39, v61
	v_add_f32_e32 v36, v43, v36
	v_fma_f32 v38, 0xbeb58ec6, v70, -v38
	v_mul_f32_e32 v146, 0x3f62ad3f, v90
	v_add_f32_e32 v43, v45, v44
	v_add_f32_e32 v37, v80, v37
	v_fmac_f32_e32 v82, 0xbf29c268, v64
	v_add_f32_e32 v36, v38, v36
	v_fma_f32 v38, 0xbf3f9e67, v72, -v41
	v_mov_b32_e32 v44, 3
	v_fmamk_f32 v150, v67, 0xbeedf032, v146
	v_fmac_f32_e32 v146, 0x3eedf032, v67
	v_fma_f32 v41, 0x3f62ad3f, v71, -v141
	v_add_f32_e32 v45, v82, v37
	v_fmac_f32_e32 v39, 0xbe750f2a, v67
	v_add_f32_e32 v38, v38, v36
	v_fma_f32 v40, 0xbf788fa5, v71, -v40
	v_lshlrev_b32_sdwa v44, v44, v59 dst_sel:DWORD dst_unused:UNUSED_PAD src0_sel:DWORD src1_sel:WORD_0
	v_add_f32_e32 v76, v150, v76
	v_add_f32_e32 v37, v146, v42
	;; [unrolled: 1-line block ×5, first 2 shown]
	ds_write2_b64 v44, v[0:1], v[4:5] offset1:1
	ds_write2_b64 v44, v[75:76], v[73:74] offset0:2 offset1:3
	ds_write2_b64 v44, v[55:56], v[53:54] offset0:4 offset1:5
	;; [unrolled: 1-line block ×5, first 2 shown]
	ds_write_b64 v44, v[38:39] offset:96
.LBB0_13:
	s_or_b32 exec_lo, exec_lo, s0
	s_waitcnt lgkmcnt(0)
	s_barrier
	buffer_gl0_inv
	ds_read2_b64 v[2:5], v57 offset1:91
	v_add_nc_u32_e32 v0, 0x400, v57
	v_add_nc_u32_e32 v1, 0x800, v57
	ds_read_b64 v[10:11], v57 offset:4368
	ds_read2_b64 v[6:9], v0 offset0:54 offset1:145
	ds_read2_b64 v[36:39], v1 offset0:108 offset1:199
	s_waitcnt lgkmcnt(0)
	s_barrier
	buffer_gl0_inv
	v_mul_f32_e32 v40, v21, v5
	v_mul_f32_e32 v21, v21, v4
	;; [unrolled: 1-line block ×4, first 2 shown]
	v_fmac_f32_e32 v40, v20, v4
	v_fma_f32 v4, v20, v5, -v21
	v_mul_f32_e32 v5, v23, v7
	v_mul_f32_e32 v20, v23, v6
	;; [unrolled: 1-line block ×8, first 2 shown]
	v_fmac_f32_e32 v41, v14, v10
	v_fma_f32 v10, v14, v11, -v15
	v_fmac_f32_e32 v5, v22, v6
	v_fma_f32 v6, v22, v7, -v20
	v_fma_f32 v7, v16, v9, -v17
	v_fmac_f32_e32 v42, v12, v38
	v_fma_f32 v9, v12, v39, -v13
	v_fmac_f32_e32 v21, v16, v8
	v_fmac_f32_e32 v23, v18, v36
	v_fma_f32 v8, v18, v37, -v19
	v_add_f32_e32 v11, v40, v41
	v_add_f32_e32 v12, v4, v10
	v_sub_f32_e32 v4, v4, v10
	v_add_f32_e32 v10, v5, v42
	v_add_f32_e32 v14, v6, v9
	v_sub_f32_e32 v5, v5, v42
	v_sub_f32_e32 v6, v6, v9
	v_add_f32_e32 v9, v21, v23
	v_add_f32_e32 v15, v7, v8
	v_sub_f32_e32 v16, v23, v21
	;; [unrolled: 4-line block ×3, first 2 shown]
	v_sub_f32_e32 v18, v10, v11
	v_sub_f32_e32 v19, v14, v12
	;; [unrolled: 1-line block ×6, first 2 shown]
	v_add_f32_e32 v20, v16, v5
	v_add_f32_e32 v21, v7, v6
	v_sub_f32_e32 v22, v16, v5
	v_sub_f32_e32 v23, v7, v6
	v_add_f32_e32 v8, v9, v8
	v_add_f32_e32 v9, v15, v17
	v_sub_f32_e32 v5, v5, v13
	v_sub_f32_e32 v6, v6, v4
	;; [unrolled: 1-line block ×4, first 2 shown]
	v_add_f32_e32 v13, v20, v13
	v_add_f32_e32 v4, v21, v4
	;; [unrolled: 1-line block ×4, first 2 shown]
	v_mul_f32_e32 v11, 0x3f4a47b2, v11
	v_mul_f32_e32 v12, 0x3f4a47b2, v12
	;; [unrolled: 1-line block ×8, first 2 shown]
	v_fmamk_f32 v8, v8, 0xbf955555, v2
	v_fmamk_f32 v9, v9, 0xbf955555, v3
	;; [unrolled: 1-line block ×4, first 2 shown]
	v_fma_f32 v15, 0x3f3bfb3b, v18, -v15
	v_fma_f32 v17, 0x3f3bfb3b, v19, -v17
	;; [unrolled: 1-line block ×4, first 2 shown]
	v_fmamk_f32 v18, v16, 0xbeae86e6, v20
	v_fmamk_f32 v19, v7, 0xbeae86e6, v21
	v_fma_f32 v20, 0xbf5ff5aa, v5, -v20
	v_fma_f32 v21, 0xbf5ff5aa, v6, -v21
	;; [unrolled: 1-line block ×4, first 2 shown]
	v_add_f32_e32 v23, v10, v8
	v_add_f32_e32 v36, v14, v9
	v_fmac_f32_e32 v18, 0xbee1c552, v13
	v_fmac_f32_e32 v19, 0xbee1c552, v4
	v_add_f32_e32 v10, v15, v8
	v_add_f32_e32 v14, v17, v9
	;; [unrolled: 1-line block ×4, first 2 shown]
	v_fmac_f32_e32 v20, 0xbee1c552, v13
	v_fmac_f32_e32 v22, 0xbee1c552, v4
	;; [unrolled: 1-line block ×4, first 2 shown]
	v_add_f32_e32 v4, v19, v23
	v_sub_f32_e32 v5, v36, v18
	v_add_f32_e32 v6, v22, v15
	v_sub_f32_e32 v7, v17, v16
	v_sub_f32_e32 v8, v10, v21
	v_add_f32_e32 v9, v20, v14
	v_add_f32_e32 v10, v21, v10
	v_sub_f32_e32 v11, v14, v20
	v_sub_f32_e32 v12, v15, v22
	v_add_f32_e32 v13, v16, v17
	v_sub_f32_e32 v14, v23, v19
	v_add_f32_e32 v15, v18, v36
	ds_write2_b64 v60, v[2:3], v[4:5] offset1:13
	ds_write2_b64 v60, v[6:7], v[8:9] offset0:26 offset1:39
	ds_write2_b64 v60, v[10:11], v[12:13] offset0:52 offset1:65
	ds_write_b64 v60, v[14:15] offset:624
	s_waitcnt lgkmcnt(0)
	s_barrier
	buffer_gl0_inv
	ds_read2_b64 v[2:5], v57 offset1:91
	ds_read2_b64 v[6:9], v0 offset0:54 offset1:145
	ds_read2_b64 v[10:13], v1 offset0:108 offset1:199
	ds_read_b64 v[14:15], v57 offset:4368
	s_waitcnt lgkmcnt(3)
	v_mul_f32_e32 v16, v33, v5
	v_mul_f32_e32 v17, v33, v4
	s_waitcnt lgkmcnt(2)
	v_mul_f32_e32 v18, v29, v9
	v_mul_f32_e32 v19, v29, v8
	s_waitcnt lgkmcnt(1)
	v_mul_f32_e32 v20, v31, v11
	v_fmac_f32_e32 v16, v32, v4
	v_fma_f32 v4, v32, v5, -v17
	v_mul_f32_e32 v5, v35, v7
	v_mul_f32_e32 v17, v35, v6
	v_fmac_f32_e32 v18, v28, v8
	v_fmac_f32_e32 v20, v30, v10
	s_waitcnt lgkmcnt(0)
	v_mul_f32_e32 v8, v27, v15
	v_fmac_f32_e32 v5, v34, v6
	v_fma_f32 v6, v34, v7, -v17
	v_fma_f32 v7, v28, v9, -v19
	v_mul_f32_e32 v9, v27, v14
	v_mul_f32_e32 v10, v31, v10
	v_mul_f32_e32 v17, v25, v13
	v_mul_f32_e32 v19, v25, v12
	v_fmac_f32_e32 v8, v26, v14
	v_fma_f32 v9, v26, v15, -v9
	v_fma_f32 v10, v30, v11, -v10
	v_fmac_f32_e32 v17, v24, v12
	v_fma_f32 v11, v24, v13, -v19
	v_add_f32_e32 v12, v16, v8
	v_add_f32_e32 v13, v4, v9
	v_sub_f32_e32 v4, v4, v9
	v_add_f32_e32 v9, v5, v17
	v_add_f32_e32 v14, v6, v11
	v_sub_f32_e32 v8, v16, v8
	v_sub_f32_e32 v5, v5, v17
	;; [unrolled: 1-line block ×3, first 2 shown]
	v_add_f32_e32 v11, v18, v20
	v_add_f32_e32 v15, v7, v10
	v_sub_f32_e32 v16, v20, v18
	v_sub_f32_e32 v7, v10, v7
	v_add_f32_e32 v10, v9, v12
	v_add_f32_e32 v17, v14, v13
	v_sub_f32_e32 v18, v9, v12
	v_sub_f32_e32 v19, v14, v13
	;; [unrolled: 1-line block ×6, first 2 shown]
	v_add_f32_e32 v20, v16, v5
	v_add_f32_e32 v21, v7, v6
	v_sub_f32_e32 v22, v16, v5
	v_sub_f32_e32 v23, v7, v6
	v_add_f32_e32 v10, v11, v10
	v_add_f32_e32 v11, v15, v17
	v_sub_f32_e32 v5, v5, v8
	v_sub_f32_e32 v6, v6, v4
	;; [unrolled: 1-line block ×4, first 2 shown]
	v_add_f32_e32 v8, v20, v8
	v_add_f32_e32 v4, v21, v4
	;; [unrolled: 1-line block ×4, first 2 shown]
	v_mul_f32_e32 v12, 0x3f4a47b2, v12
	v_mul_f32_e32 v13, 0x3f4a47b2, v13
	;; [unrolled: 1-line block ×8, first 2 shown]
	v_fmamk_f32 v10, v10, 0xbf955555, v2
	v_fmamk_f32 v11, v11, 0xbf955555, v3
	;; [unrolled: 1-line block ×4, first 2 shown]
	v_fma_f32 v15, 0x3f3bfb3b, v18, -v15
	v_fma_f32 v17, 0x3f3bfb3b, v19, -v17
	v_fma_f32 v12, 0xbf3bfb3b, v18, -v12
	v_fma_f32 v13, 0xbf3bfb3b, v19, -v13
	v_fmamk_f32 v18, v16, 0xbeae86e6, v20
	v_fmamk_f32 v19, v7, 0xbeae86e6, v21
	v_fma_f32 v20, 0xbf5ff5aa, v5, -v20
	v_fma_f32 v21, 0xbf5ff5aa, v6, -v21
	;; [unrolled: 1-line block ×4, first 2 shown]
	v_add_f32_e32 v23, v9, v10
	v_add_f32_e32 v24, v14, v11
	v_fmac_f32_e32 v18, 0xbee1c552, v8
	v_fmac_f32_e32 v19, 0xbee1c552, v4
	v_add_f32_e32 v14, v15, v10
	v_add_f32_e32 v15, v17, v11
	;; [unrolled: 1-line block ×4, first 2 shown]
	v_fmac_f32_e32 v20, 0xbee1c552, v8
	v_fmac_f32_e32 v22, 0xbee1c552, v4
	;; [unrolled: 1-line block ×4, first 2 shown]
	v_add_f32_e32 v4, v19, v23
	v_sub_f32_e32 v5, v24, v18
	v_add_f32_e32 v6, v22, v12
	v_sub_f32_e32 v7, v13, v16
	v_sub_f32_e32 v8, v14, v21
	v_add_f32_e32 v9, v20, v15
	v_add_f32_e32 v10, v21, v14
	v_sub_f32_e32 v11, v15, v20
	v_sub_f32_e32 v12, v12, v22
	v_add_f32_e32 v13, v16, v13
	v_sub_f32_e32 v14, v23, v19
	v_add_f32_e32 v15, v18, v24
	ds_write2_b64 v57, v[2:3], v[4:5] offset1:91
	ds_write2_b64 v0, v[6:7], v[8:9] offset0:54 offset1:145
	ds_write2_b64 v1, v[10:11], v[12:13] offset0:108 offset1:199
	ds_write_b64 v57, v[14:15] offset:4368
	s_waitcnt lgkmcnt(0)
	s_barrier
	buffer_gl0_inv
	s_and_b32 exec_lo, exec_lo, vcc_lo
	s_cbranch_execz .LBB0_15
; %bb.14:
	v_add_co_u32 v4, s0, s14, v57
	v_add_co_ci_u32_e64 v5, null, s15, 0, s0
	s_clause 0x5
	global_load_dwordx2 v[26:27], v57, s[14:15]
	global_load_dwordx2 v[28:29], v57, s[14:15] offset:392
	global_load_dwordx2 v[30:31], v57, s[14:15] offset:784
	;; [unrolled: 1-line block ×5, first 2 shown]
	v_add_co_u32 v2, vcc_lo, 0x800, v4
	v_add_co_ci_u32_e32 v3, vcc_lo, 0, v5, vcc_lo
	v_add_co_u32 v44, vcc_lo, 0x1000, v4
	v_add_co_ci_u32_e32 v45, vcc_lo, 0, v5, vcc_lo
	s_clause 0x5
	global_load_dwordx2 v[38:39], v[2:3], off offset:304
	global_load_dwordx2 v[40:41], v[2:3], off offset:696
	;; [unrolled: 1-line block ×6, first 2 shown]
	v_mad_u64_u32 v[2:3], null, s6, v48, 0
	v_mad_u64_u32 v[4:5], null, s4, v58, 0
	ds_read_b64 v[53:54], v57
	ds_read2_b64 v[10:13], v0 offset0:117 offset1:166
	v_add_nc_u32_e32 v22, 0x1000, v57
	ds_read2_b64 v[14:17], v1 offset0:87 offset1:136
	ds_read2_b64 v[18:21], v1 offset0:185 offset1:234
	s_mul_i32 s0, s5, 0x188
	v_mad_u64_u32 v[6:7], null, s7, v48, v[3:4]
	ds_read2_b64 v[22:25], v22 offset0:27 offset1:76
	s_mul_hi_u32 s1, s4, 0x188
	s_mul_i32 s2, s4, 0x188
	s_add_i32 s3, s1, s0
	s_mov_b32 s0, 0xf5262dd1
	s_mov_b32 s1, 0x3f59b876
	v_mad_u64_u32 v[7:8], null, s5, v58, v[5:6]
	v_mov_b32_e32 v3, v6
	v_lshlrev_b64 v[2:3], 3, v[2:3]
	v_mov_b32_e32 v5, v7
	ds_read2_b64 v[6:9], v57 offset0:147 offset1:196
	v_lshlrev_b64 v[4:5], 3, v[4:5]
	v_add_co_u32 v2, vcc_lo, s12, v2
	v_add_co_ci_u32_e32 v3, vcc_lo, s13, v3, vcc_lo
	v_add_co_u32 v55, vcc_lo, v2, v4
	v_add_co_ci_u32_e32 v56, vcc_lo, v3, v5, vcc_lo
	ds_read2_b64 v[2:5], v57 offset0:49 offset1:98
	v_add_co_u32 v58, vcc_lo, v55, s2
	v_add_co_ci_u32_e32 v59, vcc_lo, s3, v56, vcc_lo
	v_add_co_u32 v60, vcc_lo, v58, s2
	v_add_co_ci_u32_e32 v61, vcc_lo, s3, v59, vcc_lo
	;; [unrolled: 2-line block ×9, first 2 shown]
	s_waitcnt vmcnt(11) lgkmcnt(6)
	v_mul_f32_e32 v48, v54, v27
	s_waitcnt vmcnt(10) lgkmcnt(0)
	v_mul_f32_e32 v57, v3, v29
	s_waitcnt vmcnt(9)
	v_mul_f32_e32 v74, v5, v31
	v_mul_f32_e32 v27, v53, v27
	;; [unrolled: 1-line block ×4, first 2 shown]
	s_waitcnt vmcnt(8)
	v_mul_f32_e32 v75, v7, v33
	s_waitcnt vmcnt(7)
	v_mul_f32_e32 v76, v9, v35
	;; [unrolled: 2-line block ×3, first 2 shown]
	v_fmac_f32_e32 v48, v53, v26
	v_mul_f32_e32 v33, v6, v33
	v_fmac_f32_e32 v57, v2, v28
	v_mul_f32_e32 v37, v10, v37
	;; [unrolled: 2-line block ×3, first 2 shown]
	v_fma_f32 v26, v26, v54, -v27
	v_fma_f32 v27, v28, v3, -v29
	;; [unrolled: 1-line block ×3, first 2 shown]
	v_fmac_f32_e32 v75, v6, v32
	v_fmac_f32_e32 v76, v8, v34
	v_fmac_f32_e32 v77, v10, v36
	v_cvt_f64_f32_e32 v[2:3], v48
	s_waitcnt vmcnt(5)
	v_mul_f32_e32 v48, v13, v39
	v_mul_f32_e32 v39, v12, v39
	v_fma_f32 v30, v32, v7, -v33
	v_cvt_f64_f32_e32 v[6:7], v57
	s_waitcnt vmcnt(4)
	v_mul_f32_e32 v57, v15, v41
	v_mul_f32_e32 v41, v14, v41
	v_fma_f32 v53, v36, v11, -v37
	;; [unrolled: 5-line block ×3, first 2 shown]
	v_cvt_f64_f32_e32 v[4:5], v26
	v_cvt_f64_f32_e32 v[8:9], v27
	;; [unrolled: 1-line block ×4, first 2 shown]
	s_waitcnt vmcnt(2)
	v_mul_f32_e32 v75, v19, v47
	v_mul_f32_e32 v47, v18, v47
	v_cvt_f64_f32_e32 v[32:33], v76
	s_waitcnt vmcnt(1)
	v_mul_f32_e32 v76, v21, v50
	v_mul_f32_e32 v50, v20, v50
	v_cvt_f64_f32_e32 v[36:37], v77
	s_waitcnt vmcnt(0)
	v_mul_f32_e32 v77, v23, v52
	v_mul_f32_e32 v52, v22, v52
	v_fmac_f32_e32 v48, v12, v38
	v_fma_f32 v38, v38, v13, -v39
	v_fmac_f32_e32 v57, v14, v40
	v_fma_f32 v39, v40, v15, -v41
	v_cvt_f64_f32_e32 v[30:31], v30
	v_fmac_f32_e32 v74, v16, v42
	v_fma_f32 v40, v42, v17, -v43
	v_cvt_f64_f32_e32 v[34:35], v34
	;; [unrolled: 3-line block ×3, first 2 shown]
	v_fmac_f32_e32 v76, v20, v49
	v_fma_f32 v46, v49, v21, -v50
	v_fmac_f32_e32 v77, v22, v51
	v_fma_f32 v50, v51, v23, -v52
	v_cvt_f64_f32_e32 v[12:13], v48
	v_cvt_f64_f32_e32 v[14:15], v38
	;; [unrolled: 1-line block ×12, first 2 shown]
	v_mul_f64 v[2:3], v[2:3], s[0:1]
	v_mul_f64 v[4:5], v[4:5], s[0:1]
	;; [unrolled: 1-line block ×24, first 2 shown]
	v_cvt_f32_f64_e32 v2, v[2:3]
	v_cvt_f32_f64_e32 v3, v[4:5]
	;; [unrolled: 1-line block ×24, first 2 shown]
	v_add_co_u32 v28, vcc_lo, v72, s2
	v_add_co_ci_u32_e32 v29, vcc_lo, s3, v73, vcc_lo
	v_add_co_u32 v30, vcc_lo, v28, s2
	v_add_co_ci_u32_e32 v31, vcc_lo, s3, v29, vcc_lo
	global_store_dwordx2 v[55:56], v[2:3], off
	global_store_dwordx2 v[58:59], v[4:5], off
	;; [unrolled: 1-line block ×12, first 2 shown]
	global_load_dwordx2 v[0:1], v[44:45], off offset:608
	s_waitcnt vmcnt(0)
	v_mul_f32_e32 v2, v25, v1
	v_mul_f32_e32 v1, v24, v1
	v_fmac_f32_e32 v2, v24, v0
	v_fma_f32 v3, v0, v25, -v1
	v_cvt_f64_f32_e32 v[0:1], v2
	v_cvt_f64_f32_e32 v[2:3], v3
	v_mul_f64 v[0:1], v[0:1], s[0:1]
	v_mul_f64 v[2:3], v[2:3], s[0:1]
	v_cvt_f32_f64_e32 v0, v[0:1]
	v_cvt_f32_f64_e32 v1, v[2:3]
	v_add_co_u32 v2, vcc_lo, v30, s2
	v_add_co_ci_u32_e32 v3, vcc_lo, s3, v31, vcc_lo
	global_store_dwordx2 v[2:3], v[0:1], off
.LBB0_15:
	s_endpgm
	.section	.rodata,"a",@progbits
	.p2align	6, 0x0
	.amdhsa_kernel bluestein_single_back_len637_dim1_sp_op_CI_CI
		.amdhsa_group_segment_fixed_size 5096
		.amdhsa_private_segment_fixed_size 0
		.amdhsa_kernarg_size 104
		.amdhsa_user_sgpr_count 6
		.amdhsa_user_sgpr_private_segment_buffer 1
		.amdhsa_user_sgpr_dispatch_ptr 0
		.amdhsa_user_sgpr_queue_ptr 0
		.amdhsa_user_sgpr_kernarg_segment_ptr 1
		.amdhsa_user_sgpr_dispatch_id 0
		.amdhsa_user_sgpr_flat_scratch_init 0
		.amdhsa_user_sgpr_private_segment_size 0
		.amdhsa_wavefront_size32 1
		.amdhsa_uses_dynamic_stack 0
		.amdhsa_system_sgpr_private_segment_wavefront_offset 0
		.amdhsa_system_sgpr_workgroup_id_x 1
		.amdhsa_system_sgpr_workgroup_id_y 0
		.amdhsa_system_sgpr_workgroup_id_z 0
		.amdhsa_system_sgpr_workgroup_info 0
		.amdhsa_system_vgpr_workitem_id 0
		.amdhsa_next_free_vgpr 151
		.amdhsa_next_free_sgpr 16
		.amdhsa_reserve_vcc 1
		.amdhsa_reserve_flat_scratch 0
		.amdhsa_float_round_mode_32 0
		.amdhsa_float_round_mode_16_64 0
		.amdhsa_float_denorm_mode_32 3
		.amdhsa_float_denorm_mode_16_64 3
		.amdhsa_dx10_clamp 1
		.amdhsa_ieee_mode 1
		.amdhsa_fp16_overflow 0
		.amdhsa_workgroup_processor_mode 1
		.amdhsa_memory_ordered 1
		.amdhsa_forward_progress 0
		.amdhsa_shared_vgpr_count 0
		.amdhsa_exception_fp_ieee_invalid_op 0
		.amdhsa_exception_fp_denorm_src 0
		.amdhsa_exception_fp_ieee_div_zero 0
		.amdhsa_exception_fp_ieee_overflow 0
		.amdhsa_exception_fp_ieee_underflow 0
		.amdhsa_exception_fp_ieee_inexact 0
		.amdhsa_exception_int_div_zero 0
	.end_amdhsa_kernel
	.text
.Lfunc_end0:
	.size	bluestein_single_back_len637_dim1_sp_op_CI_CI, .Lfunc_end0-bluestein_single_back_len637_dim1_sp_op_CI_CI
                                        ; -- End function
	.section	.AMDGPU.csdata,"",@progbits
; Kernel info:
; codeLenInByte = 12032
; NumSgprs: 18
; NumVgprs: 151
; ScratchSize: 0
; MemoryBound: 0
; FloatMode: 240
; IeeeMode: 1
; LDSByteSize: 5096 bytes/workgroup (compile time only)
; SGPRBlocks: 2
; VGPRBlocks: 18
; NumSGPRsForWavesPerEU: 18
; NumVGPRsForWavesPerEU: 151
; Occupancy: 6
; WaveLimiterHint : 1
; COMPUTE_PGM_RSRC2:SCRATCH_EN: 0
; COMPUTE_PGM_RSRC2:USER_SGPR: 6
; COMPUTE_PGM_RSRC2:TRAP_HANDLER: 0
; COMPUTE_PGM_RSRC2:TGID_X_EN: 1
; COMPUTE_PGM_RSRC2:TGID_Y_EN: 0
; COMPUTE_PGM_RSRC2:TGID_Z_EN: 0
; COMPUTE_PGM_RSRC2:TIDIG_COMP_CNT: 0
	.text
	.p2alignl 6, 3214868480
	.fill 48, 4, 3214868480
	.type	__hip_cuid_49f628fcdd67fe09,@object ; @__hip_cuid_49f628fcdd67fe09
	.section	.bss,"aw",@nobits
	.globl	__hip_cuid_49f628fcdd67fe09
__hip_cuid_49f628fcdd67fe09:
	.byte	0                               ; 0x0
	.size	__hip_cuid_49f628fcdd67fe09, 1

	.ident	"AMD clang version 19.0.0git (https://github.com/RadeonOpenCompute/llvm-project roc-6.4.0 25133 c7fe45cf4b819c5991fe208aaa96edf142730f1d)"
	.section	".note.GNU-stack","",@progbits
	.addrsig
	.addrsig_sym __hip_cuid_49f628fcdd67fe09
	.amdgpu_metadata
---
amdhsa.kernels:
  - .args:
      - .actual_access:  read_only
        .address_space:  global
        .offset:         0
        .size:           8
        .value_kind:     global_buffer
      - .actual_access:  read_only
        .address_space:  global
        .offset:         8
        .size:           8
        .value_kind:     global_buffer
      - .actual_access:  read_only
        .address_space:  global
        .offset:         16
        .size:           8
        .value_kind:     global_buffer
      - .actual_access:  read_only
        .address_space:  global
        .offset:         24
        .size:           8
        .value_kind:     global_buffer
      - .actual_access:  read_only
        .address_space:  global
        .offset:         32
        .size:           8
        .value_kind:     global_buffer
      - .offset:         40
        .size:           8
        .value_kind:     by_value
      - .address_space:  global
        .offset:         48
        .size:           8
        .value_kind:     global_buffer
      - .address_space:  global
        .offset:         56
        .size:           8
        .value_kind:     global_buffer
      - .address_space:  global
        .offset:         64
        .size:           8
        .value_kind:     global_buffer
      - .address_space:  global
        .offset:         72
        .size:           8
        .value_kind:     global_buffer
      - .offset:         80
        .size:           4
        .value_kind:     by_value
      - .address_space:  global
        .offset:         88
        .size:           8
        .value_kind:     global_buffer
      - .address_space:  global
        .offset:         96
        .size:           8
        .value_kind:     global_buffer
    .group_segment_fixed_size: 5096
    .kernarg_segment_align: 8
    .kernarg_segment_size: 104
    .language:       OpenCL C
    .language_version:
      - 2
      - 0
    .max_flat_workgroup_size: 91
    .name:           bluestein_single_back_len637_dim1_sp_op_CI_CI
    .private_segment_fixed_size: 0
    .sgpr_count:     18
    .sgpr_spill_count: 0
    .symbol:         bluestein_single_back_len637_dim1_sp_op_CI_CI.kd
    .uniform_work_group_size: 1
    .uses_dynamic_stack: false
    .vgpr_count:     151
    .vgpr_spill_count: 0
    .wavefront_size: 32
    .workgroup_processor_mode: 1
amdhsa.target:   amdgcn-amd-amdhsa--gfx1030
amdhsa.version:
  - 1
  - 2
...

	.end_amdgpu_metadata
